;; amdgpu-corpus repo=ROCm/rocFFT kind=compiled arch=gfx906 opt=O3
	.text
	.amdgcn_target "amdgcn-amd-amdhsa--gfx906"
	.amdhsa_code_object_version 6
	.protected	fft_rtc_fwd_len1944_factors_3_3_3_3_8_3_wgs_243_tpt_243_halfLds_half_ip_CI_sbrr_dirReg ; -- Begin function fft_rtc_fwd_len1944_factors_3_3_3_3_8_3_wgs_243_tpt_243_halfLds_half_ip_CI_sbrr_dirReg
	.globl	fft_rtc_fwd_len1944_factors_3_3_3_3_8_3_wgs_243_tpt_243_halfLds_half_ip_CI_sbrr_dirReg
	.p2align	8
	.type	fft_rtc_fwd_len1944_factors_3_3_3_3_8_3_wgs_243_tpt_243_halfLds_half_ip_CI_sbrr_dirReg,@function
fft_rtc_fwd_len1944_factors_3_3_3_3_8_3_wgs_243_tpt_243_halfLds_half_ip_CI_sbrr_dirReg: ; @fft_rtc_fwd_len1944_factors_3_3_3_3_8_3_wgs_243_tpt_243_halfLds_half_ip_CI_sbrr_dirReg
; %bb.0:
	s_load_dwordx2 s[14:15], s[4:5], 0x18
	s_load_dwordx4 s[8:11], s[4:5], 0x0
	s_load_dwordx2 s[12:13], s[4:5], 0x50
	v_mul_u32_u24_e32 v1, 0x10e, v0
	v_add_u32_sdwa v5, s6, v1 dst_sel:DWORD dst_unused:UNUSED_PAD src0_sel:DWORD src1_sel:WORD_1
	s_waitcnt lgkmcnt(0)
	s_load_dwordx2 s[2:3], s[14:15], 0x0
	v_cmp_lt_u64_e64 s[0:1], s[10:11], 2
	v_mov_b32_e32 v3, 0
	v_mov_b32_e32 v1, 0
	;; [unrolled: 1-line block ×3, first 2 shown]
	s_and_b64 vcc, exec, s[0:1]
	v_mov_b32_e32 v2, 0
	s_cbranch_vccnz .LBB0_8
; %bb.1:
	s_load_dwordx2 s[0:1], s[4:5], 0x10
	s_add_u32 s6, s14, 8
	s_addc_u32 s7, s15, 0
	v_mov_b32_e32 v1, 0
	v_mov_b32_e32 v2, 0
	s_waitcnt lgkmcnt(0)
	s_add_u32 s16, s0, 8
	s_addc_u32 s17, s1, 0
	s_mov_b64 s[18:19], 1
.LBB0_2:                                ; =>This Inner Loop Header: Depth=1
	s_load_dwordx2 s[20:21], s[16:17], 0x0
                                        ; implicit-def: $vgpr7_vgpr8
	s_waitcnt lgkmcnt(0)
	v_or_b32_e32 v4, s21, v6
	v_cmp_ne_u64_e32 vcc, 0, v[3:4]
	s_and_saveexec_b64 s[0:1], vcc
	s_xor_b64 s[22:23], exec, s[0:1]
	s_cbranch_execz .LBB0_4
; %bb.3:                                ;   in Loop: Header=BB0_2 Depth=1
	v_cvt_f32_u32_e32 v4, s20
	v_cvt_f32_u32_e32 v7, s21
	s_sub_u32 s0, 0, s20
	s_subb_u32 s1, 0, s21
	v_mac_f32_e32 v4, 0x4f800000, v7
	v_rcp_f32_e32 v4, v4
	v_mul_f32_e32 v4, 0x5f7ffffc, v4
	v_mul_f32_e32 v7, 0x2f800000, v4
	v_trunc_f32_e32 v7, v7
	v_mac_f32_e32 v4, 0xcf800000, v7
	v_cvt_u32_f32_e32 v7, v7
	v_cvt_u32_f32_e32 v4, v4
	v_mul_lo_u32 v8, s0, v7
	v_mul_hi_u32 v9, s0, v4
	v_mul_lo_u32 v11, s1, v4
	v_mul_lo_u32 v10, s0, v4
	v_add_u32_e32 v8, v9, v8
	v_add_u32_e32 v8, v8, v11
	v_mul_hi_u32 v9, v4, v10
	v_mul_lo_u32 v11, v4, v8
	v_mul_hi_u32 v13, v4, v8
	v_mul_hi_u32 v12, v7, v10
	v_mul_lo_u32 v10, v7, v10
	v_mul_hi_u32 v14, v7, v8
	v_add_co_u32_e32 v9, vcc, v9, v11
	v_addc_co_u32_e32 v11, vcc, 0, v13, vcc
	v_mul_lo_u32 v8, v7, v8
	v_add_co_u32_e32 v9, vcc, v9, v10
	v_addc_co_u32_e32 v9, vcc, v11, v12, vcc
	v_addc_co_u32_e32 v10, vcc, 0, v14, vcc
	v_add_co_u32_e32 v8, vcc, v9, v8
	v_addc_co_u32_e32 v9, vcc, 0, v10, vcc
	v_add_co_u32_e32 v4, vcc, v4, v8
	v_addc_co_u32_e32 v7, vcc, v7, v9, vcc
	v_mul_lo_u32 v8, s0, v7
	v_mul_hi_u32 v9, s0, v4
	v_mul_lo_u32 v10, s1, v4
	v_mul_lo_u32 v11, s0, v4
	v_add_u32_e32 v8, v9, v8
	v_add_u32_e32 v8, v8, v10
	v_mul_lo_u32 v12, v4, v8
	v_mul_hi_u32 v13, v4, v11
	v_mul_hi_u32 v14, v4, v8
	;; [unrolled: 1-line block ×3, first 2 shown]
	v_mul_lo_u32 v11, v7, v11
	v_mul_hi_u32 v9, v7, v8
	v_add_co_u32_e32 v12, vcc, v13, v12
	v_addc_co_u32_e32 v13, vcc, 0, v14, vcc
	v_mul_lo_u32 v8, v7, v8
	v_add_co_u32_e32 v11, vcc, v12, v11
	v_addc_co_u32_e32 v10, vcc, v13, v10, vcc
	v_addc_co_u32_e32 v9, vcc, 0, v9, vcc
	v_add_co_u32_e32 v8, vcc, v10, v8
	v_addc_co_u32_e32 v9, vcc, 0, v9, vcc
	v_add_co_u32_e32 v4, vcc, v4, v8
	v_addc_co_u32_e32 v9, vcc, v7, v9, vcc
	v_mad_u64_u32 v[7:8], s[0:1], v5, v9, 0
	v_mul_hi_u32 v10, v5, v4
	v_add_co_u32_e32 v11, vcc, v10, v7
	v_addc_co_u32_e32 v12, vcc, 0, v8, vcc
	v_mad_u64_u32 v[7:8], s[0:1], v6, v4, 0
	v_mad_u64_u32 v[9:10], s[0:1], v6, v9, 0
	v_add_co_u32_e32 v4, vcc, v11, v7
	v_addc_co_u32_e32 v4, vcc, v12, v8, vcc
	v_addc_co_u32_e32 v7, vcc, 0, v10, vcc
	v_add_co_u32_e32 v4, vcc, v4, v9
	v_addc_co_u32_e32 v9, vcc, 0, v7, vcc
	v_mul_lo_u32 v10, s21, v4
	v_mul_lo_u32 v11, s20, v9
	v_mad_u64_u32 v[7:8], s[0:1], s20, v4, 0
	v_add3_u32 v8, v8, v11, v10
	v_sub_u32_e32 v10, v6, v8
	v_mov_b32_e32 v11, s21
	v_sub_co_u32_e32 v7, vcc, v5, v7
	v_subb_co_u32_e64 v10, s[0:1], v10, v11, vcc
	v_subrev_co_u32_e64 v11, s[0:1], s20, v7
	v_subbrev_co_u32_e64 v10, s[0:1], 0, v10, s[0:1]
	v_cmp_le_u32_e64 s[0:1], s21, v10
	v_cndmask_b32_e64 v12, 0, -1, s[0:1]
	v_cmp_le_u32_e64 s[0:1], s20, v11
	v_cndmask_b32_e64 v11, 0, -1, s[0:1]
	v_cmp_eq_u32_e64 s[0:1], s21, v10
	v_cndmask_b32_e64 v10, v12, v11, s[0:1]
	v_add_co_u32_e64 v11, s[0:1], 2, v4
	v_addc_co_u32_e64 v12, s[0:1], 0, v9, s[0:1]
	v_add_co_u32_e64 v13, s[0:1], 1, v4
	v_addc_co_u32_e64 v14, s[0:1], 0, v9, s[0:1]
	v_subb_co_u32_e32 v8, vcc, v6, v8, vcc
	v_cmp_ne_u32_e64 s[0:1], 0, v10
	v_cmp_le_u32_e32 vcc, s21, v8
	v_cndmask_b32_e64 v10, v14, v12, s[0:1]
	v_cndmask_b32_e64 v12, 0, -1, vcc
	v_cmp_le_u32_e32 vcc, s20, v7
	v_cndmask_b32_e64 v7, 0, -1, vcc
	v_cmp_eq_u32_e32 vcc, s21, v8
	v_cndmask_b32_e32 v7, v12, v7, vcc
	v_cmp_ne_u32_e32 vcc, 0, v7
	v_cndmask_b32_e64 v7, v13, v11, s[0:1]
	v_cndmask_b32_e32 v8, v9, v10, vcc
	v_cndmask_b32_e32 v7, v4, v7, vcc
.LBB0_4:                                ;   in Loop: Header=BB0_2 Depth=1
	s_andn2_saveexec_b64 s[0:1], s[22:23]
	s_cbranch_execz .LBB0_6
; %bb.5:                                ;   in Loop: Header=BB0_2 Depth=1
	v_cvt_f32_u32_e32 v4, s20
	s_sub_i32 s22, 0, s20
	v_rcp_iflag_f32_e32 v4, v4
	v_mul_f32_e32 v4, 0x4f7ffffe, v4
	v_cvt_u32_f32_e32 v4, v4
	v_mul_lo_u32 v7, s22, v4
	v_mul_hi_u32 v7, v4, v7
	v_add_u32_e32 v4, v4, v7
	v_mul_hi_u32 v4, v5, v4
	v_mul_lo_u32 v7, v4, s20
	v_add_u32_e32 v8, 1, v4
	v_sub_u32_e32 v7, v5, v7
	v_subrev_u32_e32 v9, s20, v7
	v_cmp_le_u32_e32 vcc, s20, v7
	v_cndmask_b32_e32 v7, v7, v9, vcc
	v_cndmask_b32_e32 v4, v4, v8, vcc
	v_add_u32_e32 v8, 1, v4
	v_cmp_le_u32_e32 vcc, s20, v7
	v_cndmask_b32_e32 v7, v4, v8, vcc
	v_mov_b32_e32 v8, v3
.LBB0_6:                                ;   in Loop: Header=BB0_2 Depth=1
	s_or_b64 exec, exec, s[0:1]
	v_mul_lo_u32 v4, v8, s20
	v_mul_lo_u32 v11, v7, s21
	v_mad_u64_u32 v[9:10], s[0:1], v7, s20, 0
	s_load_dwordx2 s[0:1], s[6:7], 0x0
	s_add_u32 s18, s18, 1
	v_add3_u32 v4, v10, v11, v4
	v_sub_co_u32_e32 v5, vcc, v5, v9
	v_subb_co_u32_e32 v4, vcc, v6, v4, vcc
	s_waitcnt lgkmcnt(0)
	v_mul_lo_u32 v4, s0, v4
	v_mul_lo_u32 v6, s1, v5
	v_mad_u64_u32 v[1:2], s[0:1], s0, v5, v[1:2]
	s_addc_u32 s19, s19, 0
	s_add_u32 s6, s6, 8
	v_add3_u32 v2, v6, v2, v4
	v_mov_b32_e32 v4, s10
	v_mov_b32_e32 v5, s11
	s_addc_u32 s7, s7, 0
	v_cmp_ge_u64_e32 vcc, s[18:19], v[4:5]
	s_add_u32 s16, s16, 8
	s_addc_u32 s17, s17, 0
	s_cbranch_vccnz .LBB0_9
; %bb.7:                                ;   in Loop: Header=BB0_2 Depth=1
	v_mov_b32_e32 v5, v7
	v_mov_b32_e32 v6, v8
	s_branch .LBB0_2
.LBB0_8:
	v_mov_b32_e32 v8, v6
	v_mov_b32_e32 v7, v5
.LBB0_9:
	s_lshl_b64 s[0:1], s[10:11], 3
	s_add_u32 s0, s14, s0
	s_addc_u32 s1, s15, s1
	s_load_dwordx2 s[6:7], s[0:1], 0x0
	s_load_dwordx2 s[10:11], s[4:5], 0x20
	s_waitcnt lgkmcnt(0)
	v_mad_u64_u32 v[1:2], s[0:1], s6, v7, v[1:2]
	s_mov_b32 s0, 0x10db20b
	v_mul_lo_u32 v3, s6, v8
	v_mul_lo_u32 v4, s7, v7
	v_mul_hi_u32 v5, v0, s0
	v_cmp_gt_u64_e32 vcc, s[10:11], v[7:8]
	v_cmp_le_u64_e64 s[0:1], s[10:11], v[7:8]
	v_add3_u32 v2, v4, v2, v3
	v_mul_u32_u24_e32 v3, 0xf3, v5
	v_sub_u32_e32 v6, v0, v3
                                        ; implicit-def: $vgpr7
	s_and_saveexec_b64 s[4:5], s[0:1]
	s_xor_b64 s[0:1], exec, s[4:5]
; %bb.10:
	v_add_u32_e32 v7, 0xf3, v6
; %bb.11:
	s_or_saveexec_b64 s[4:5], s[0:1]
	v_lshlrev_b64 v[4:5], 2, v[1:2]
                                        ; implicit-def: $vgpr12
                                        ; implicit-def: $vgpr0
                                        ; implicit-def: $vgpr25
                                        ; implicit-def: $vgpr3
                                        ; implicit-def: $vgpr27
                                        ; implicit-def: $vgpr10
                                        ; implicit-def: $vgpr24
                                        ; implicit-def: $vgpr9
                                        ; implicit-def: $vgpr26
                                        ; implicit-def: $vgpr8
                                        ; implicit-def: $vgpr28
                                        ; implicit-def: $vgpr11
                                        ; implicit-def: $vgpr21
                                        ; implicit-def: $vgpr13
                                        ; implicit-def: $vgpr22
                                        ; implicit-def: $vgpr15
                                        ; implicit-def: $vgpr23
                                        ; implicit-def: $vgpr16
	s_xor_b64 exec, exec, s[4:5]
	s_cbranch_execz .LBB0_15
; %bb.12:
	v_mad_u64_u32 v[7:8], s[0:1], s2, v6, 0
	v_add_u32_e32 v3, 0x288, v6
	v_mad_u64_u32 v[9:10], s[0:1], s2, v3, 0
	v_mov_b32_e32 v0, v8
	v_mad_u64_u32 v[0:1], s[0:1], s3, v6, v[0:1]
	v_mov_b32_e32 v2, s13
	v_add_co_u32_e64 v1, s[0:1], s12, v4
	v_mov_b32_e32 v8, v0
	v_mov_b32_e32 v0, v10
	v_addc_co_u32_e64 v2, s[0:1], v2, v5, s[0:1]
	v_mad_u64_u32 v[10:11], s[0:1], s3, v3, v[0:1]
	v_add_u32_e32 v3, 0x510, v6
	v_mad_u64_u32 v[11:12], s[0:1], s2, v3, 0
	v_lshlrev_b64 v[7:8], 2, v[7:8]
	v_add_co_u32_e64 v13, s[0:1], v1, v7
	v_mov_b32_e32 v0, v12
	v_addc_co_u32_e64 v14, s[0:1], v2, v8, s[0:1]
	v_mad_u64_u32 v[15:16], s[0:1], s3, v3, v[0:1]
	v_add_u32_e32 v7, 0xf3, v6
	v_mad_u64_u32 v[16:17], s[0:1], s2, v7, 0
	v_lshlrev_b64 v[8:9], 2, v[9:10]
	v_mov_b32_e32 v12, v15
	v_add_co_u32_e64 v18, s[0:1], v1, v8
	v_mov_b32_e32 v0, v17
	v_addc_co_u32_e64 v19, s[0:1], v2, v9, s[0:1]
	v_lshlrev_b64 v[8:9], 2, v[11:12]
	v_mad_u64_u32 v[10:11], s[0:1], s3, v7, v[0:1]
	v_add_u32_e32 v3, 0x37b, v6
	v_mad_u64_u32 v[11:12], s[0:1], s2, v3, 0
	v_add_co_u32_e64 v20, s[0:1], v1, v8
	v_mov_b32_e32 v17, v10
	v_mov_b32_e32 v0, v12
	v_addc_co_u32_e64 v21, s[0:1], v2, v9, s[0:1]
	v_lshlrev_b64 v[8:9], 2, v[16:17]
	v_mad_u64_u32 v[15:16], s[0:1], s3, v3, v[0:1]
	v_add_u32_e32 v3, 0x603, v6
	v_mad_u64_u32 v[16:17], s[0:1], s2, v3, 0
	v_add_co_u32_e64 v22, s[0:1], v1, v8
	v_mov_b32_e32 v12, v15
	v_mov_b32_e32 v0, v17
	v_addc_co_u32_e64 v23, s[0:1], v2, v9, s[0:1]
	v_lshlrev_b64 v[8:9], 2, v[11:12]
	v_mad_u64_u32 v[10:11], s[0:1], s3, v3, v[0:1]
	v_add_co_u32_e64 v24, s[0:1], v1, v8
	v_mov_b32_e32 v17, v10
	v_addc_co_u32_e64 v25, s[0:1], v2, v9, s[0:1]
	v_lshlrev_b64 v[8:9], 2, v[16:17]
	v_add_co_u32_e64 v15, s[0:1], v1, v8
	v_addc_co_u32_e64 v16, s[0:1], v2, v9, s[0:1]
	global_load_dword v0, v[13:14], off
	global_load_dword v3, v[18:19], off
	;; [unrolled: 1-line block ×6, first 2 shown]
	s_movk_i32 s0, 0xa2
	v_cmp_gt_u32_e64 s[0:1], s0, v6
                                        ; implicit-def: $vgpr16
                                        ; implicit-def: $vgpr23
                                        ; implicit-def: $vgpr15
                                        ; implicit-def: $vgpr22
                                        ; implicit-def: $vgpr13
                                        ; implicit-def: $vgpr21
	s_and_saveexec_b64 s[6:7], s[0:1]
	s_cbranch_execz .LBB0_14
; %bb.13:
	v_add_u32_e32 v16, 0x1e6, v6
	v_add_u32_e32 v18, 0x46e, v6
	v_mad_u64_u32 v[12:13], s[0:1], s2, v16, 0
	v_mad_u64_u32 v[14:15], s[0:1], s2, v18, 0
	v_add_u32_e32 v20, 0x6f6, v6
	v_mad_u64_u32 v[16:17], s[0:1], s3, v16, v[13:14]
	v_mov_b32_e32 v13, v16
	v_mad_u64_u32 v[15:16], s[0:1], s3, v18, v[15:16]
	v_mad_u64_u32 v[16:17], s[0:1], s2, v20, 0
	v_lshlrev_b64 v[12:13], 2, v[12:13]
	v_add_co_u32_e64 v18, s[0:1], v1, v12
	v_addc_co_u32_e64 v19, s[0:1], v2, v13, s[0:1]
	v_lshlrev_b64 v[12:13], 2, v[14:15]
	v_mov_b32_e32 v14, v17
	v_mad_u64_u32 v[14:15], s[0:1], s3, v20, v[14:15]
	v_add_co_u32_e64 v20, s[0:1], v1, v12
	v_mov_b32_e32 v17, v14
	v_addc_co_u32_e64 v21, s[0:1], v2, v13, s[0:1]
	v_lshlrev_b64 v[12:13], 2, v[16:17]
	v_add_co_u32_e64 v1, s[0:1], v1, v12
	v_addc_co_u32_e64 v2, s[0:1], v2, v13, s[0:1]
	global_load_dword v13, v[18:19], off
	global_load_dword v15, v[20:21], off
	;; [unrolled: 1-line block ×3, first 2 shown]
	s_waitcnt vmcnt(2)
	v_lshrrev_b32_e32 v21, 16, v13
	s_waitcnt vmcnt(1)
	v_lshrrev_b32_e32 v22, 16, v15
	;; [unrolled: 2-line block ×3, first 2 shown]
.LBB0_14:
	s_or_b64 exec, exec, s[6:7]
	s_waitcnt vmcnt(5)
	v_lshrrev_b32_e32 v12, 16, v0
	s_waitcnt vmcnt(4)
	v_lshrrev_b32_e32 v25, 16, v3
	;; [unrolled: 2-line block ×6, first 2 shown]
.LBB0_15:
	s_or_b64 exec, exec, s[4:5]
	v_add_f16_e32 v1, v3, v10
	v_fma_f16 v1, v1, -0.5, v0
	v_sub_f16_e32 v2, v25, v27
	s_movk_i32 s0, 0x3aee
	s_mov_b32 s1, 0xbaee
	v_fma_f16 v14, v2, s0, v1
	v_fma_f16 v17, v2, s1, v1
	v_add_f16_e32 v1, v8, v11
	v_add_f16_e32 v0, v0, v3
	v_fma_f16 v1, v1, -0.5, v9
	v_sub_f16_e32 v2, v26, v28
	v_add_f16_e32 v0, v0, v10
	v_mad_u32_u24 v30, v6, 6, 0
	v_fma_f16 v18, v2, s0, v1
	v_fma_f16 v19, v2, s1, v1
	v_add_f16_e32 v1, v15, v16
	ds_write_b16 v30, v0
	ds_write_b16 v30, v14 offset:2
	ds_write_b16 v30, v17 offset:4
	v_add_f16_e32 v0, v9, v8
	v_fma_f16 v2, v1, -0.5, v13
	v_sub_f16_e32 v20, v22, v23
	v_add_f16_e32 v0, v0, v11
	v_mad_i32_i24 v29, v7, 6, 0
	v_fma_f16 v1, v20, s0, v2
	ds_write_b16 v29, v0
	ds_write_b16 v29, v18 offset:2
	v_add_f16_e32 v0, v13, v15
	s_movk_i32 s0, 0xa2
	v_fma_f16 v2, v20, s1, v2
	v_add_f16_e32 v0, v0, v16
	v_cmp_gt_u32_e64 s[0:1], s0, v6
	ds_write_b16 v29, v19 offset:4
	s_and_saveexec_b64 s[4:5], s[0:1]
	s_cbranch_execz .LBB0_17
; %bb.16:
	ds_write_b16 v30, v0 offset:2916
	ds_write_b16 v30, v1 offset:2918
	;; [unrolled: 1-line block ×3, first 2 shown]
.LBB0_17:
	s_or_b64 exec, exec, s[4:5]
	v_lshlrev_b32_e32 v9, 2, v6
	v_lshlrev_b32_e32 v31, 2, v7
	v_sub_u32_e32 v18, v30, v9
	v_sub_u32_e32 v14, v29, v31
	s_waitcnt lgkmcnt(0)
	s_barrier
	ds_read_u16 v13, v18
	ds_read_u16 v19, v18 offset:1296
	ds_read_u16 v14, v14
	ds_read_u16 v17, v18 offset:3078
	ds_read_u16 v20, v18 offset:2592
	;; [unrolled: 1-line block ×3, first 2 shown]
	v_sub_u32_e32 v9, 0, v9
	v_add_u32_e32 v9, v30, v9
	s_and_saveexec_b64 s[4:5], s[0:1]
	s_cbranch_execz .LBB0_19
; %bb.18:
	ds_read_u16 v0, v9 offset:972
	ds_read_u16 v1, v9 offset:2268
	;; [unrolled: 1-line block ×3, first 2 shown]
.LBB0_19:
	s_or_b64 exec, exec, s[4:5]
	v_add_f16_e32 v32, v12, v25
	v_add_f16_e32 v25, v25, v27
	v_fma_f16 v12, v25, -0.5, v12
	v_sub_f16_e32 v3, v3, v10
	s_mov_b32 s4, 0xbaee
	s_movk_i32 s5, 0x3aee
	v_fma_f16 v10, v3, s4, v12
	v_fma_f16 v25, v3, s5, v12
	v_add_f16_e32 v3, v24, v26
	v_add_f16_e32 v32, v32, v27
	;; [unrolled: 1-line block ×4, first 2 shown]
	v_fma_f16 v3, v3, -0.5, v24
	v_sub_f16_e32 v8, v8, v11
	v_fma_f16 v24, v8, s4, v3
	v_fma_f16 v8, v8, s5, v3
	v_add_f16_e32 v3, v21, v22
	v_add_f16_e32 v12, v3, v23
	;; [unrolled: 1-line block ×3, first 2 shown]
	v_fma_f16 v3, v3, -0.5, v21
	v_sub_f16_e32 v15, v15, v16
	v_sub_u32_e32 v31, 0, v31
	v_fma_f16 v11, v15, s4, v3
	v_fma_f16 v3, v15, s5, v3
	s_waitcnt lgkmcnt(0)
	s_barrier
	ds_write_b16 v30, v32
	ds_write_b16 v30, v10 offset:2
	ds_write_b16 v30, v25 offset:4
	ds_write_b16 v29, v27
	ds_write_b16 v29, v24 offset:2
	ds_write_b16 v29, v8 offset:4
	s_and_saveexec_b64 s[4:5], s[0:1]
	s_cbranch_execz .LBB0_21
; %bb.20:
	ds_write_b16 v30, v12 offset:2916
	ds_write_b16 v30, v11 offset:2918
	;; [unrolled: 1-line block ×3, first 2 shown]
.LBB0_21:
	s_or_b64 exec, exec, s[4:5]
	s_waitcnt lgkmcnt(0)
	s_barrier
	ds_read_u16 v24, v9 offset:1296
	v_add_u32_e32 v10, v29, v31
	ds_read_u16 v21, v9 offset:3078
	ds_read_u16 v25, v9 offset:2592
	;; [unrolled: 1-line block ×3, first 2 shown]
	ds_read_u16 v16, v9
	ds_read_u16 v15, v10
	s_and_saveexec_b64 s[4:5], s[0:1]
	s_cbranch_execz .LBB0_23
; %bb.22:
	ds_read_u16 v12, v9 offset:972
	ds_read_u16 v11, v9 offset:2268
	;; [unrolled: 1-line block ×3, first 2 shown]
.LBB0_23:
	s_or_b64 exec, exec, s[4:5]
	s_movk_i32 s4, 0xab
	v_mul_lo_u16_sdwa v8, v6, s4 dst_sel:DWORD dst_unused:UNUSED_PAD src0_sel:BYTE_0 src1_sel:DWORD
	s_mov_b32 s4, 0xaaab
	v_mul_u32_u24_sdwa v27, v7, s4 dst_sel:DWORD dst_unused:UNUSED_PAD src0_sel:WORD_0 src1_sel:DWORD
	v_lshrrev_b16_e32 v22, 9, v8
	v_lshrrev_b32_e32 v27, 17, v27
	v_mul_lo_u16_e32 v8, 3, v22
	v_mul_lo_u16_e32 v28, 3, v27
	v_sub_u16_e32 v26, v6, v8
	v_mov_b32_e32 v8, 3
	v_sub_u16_e32 v28, v7, v28
	v_lshlrev_b32_sdwa v8, v8, v26 dst_sel:DWORD dst_unused:UNUSED_PAD src0_sel:DWORD src1_sel:BYTE_0
	v_lshlrev_b32_e32 v31, 3, v28
	global_load_dwordx2 v[29:30], v8, s[8:9]
	global_load_dwordx2 v[33:34], v31, s[8:9]
	v_add_u32_e32 v8, 0x1e6, v6
	v_mul_u32_u24_sdwa v32, v8, s4 dst_sel:DWORD dst_unused:UNUSED_PAD src0_sel:WORD_0 src1_sel:DWORD
	v_lshrrev_b32_e32 v31, 17, v32
	v_mul_lo_u16_e32 v32, 3, v31
	v_sub_u16_e32 v38, v8, v32
	v_lshlrev_b32_e32 v32, 3, v38
	global_load_dwordx2 v[36:37], v32, s[8:9]
	v_mov_b32_e32 v32, 1
	v_mul_u32_u24_e32 v35, 18, v22
	v_mul_u32_u24_e32 v39, 18, v27
	v_lshlrev_b32_sdwa v26, v32, v26 dst_sel:DWORD dst_unused:UNUSED_PAD src0_sel:DWORD src1_sel:BYTE_0
	v_lshlrev_b32_e32 v28, 1, v28
	v_add3_u32 v27, 0, v35, v26
	v_add3_u32 v26, 0, v39, v28
	v_mul_lo_u16_e32 v22, 9, v31
	s_movk_i32 s4, 0x3aee
	s_mov_b32 s5, 0xbaee
	s_waitcnt vmcnt(0) lgkmcnt(0)
	s_barrier
	v_mul_f16_sdwa v28, v24, v29 dst_sel:DWORD dst_unused:UNUSED_PAD src0_sel:DWORD src1_sel:WORD_1
	v_mul_f16_sdwa v32, v25, v30 dst_sel:DWORD dst_unused:UNUSED_PAD src0_sel:DWORD src1_sel:WORD_1
	v_mul_f16_sdwa v31, v19, v29 dst_sel:DWORD dst_unused:UNUSED_PAD src0_sel:DWORD src1_sel:WORD_1
	v_mul_f16_sdwa v35, v20, v30 dst_sel:DWORD dst_unused:UNUSED_PAD src0_sel:DWORD src1_sel:WORD_1
	v_mul_f16_sdwa v39, v23, v33 dst_sel:DWORD dst_unused:UNUSED_PAD src0_sel:DWORD src1_sel:WORD_1
	v_mul_f16_sdwa v40, v18, v33 dst_sel:DWORD dst_unused:UNUSED_PAD src0_sel:DWORD src1_sel:WORD_1
	v_mul_f16_sdwa v41, v21, v34 dst_sel:DWORD dst_unused:UNUSED_PAD src0_sel:DWORD src1_sel:WORD_1
	v_mul_f16_sdwa v42, v17, v34 dst_sel:DWORD dst_unused:UNUSED_PAD src0_sel:DWORD src1_sel:WORD_1
	v_fma_f16 v28, v19, v29, -v28
	v_mul_f16_sdwa v19, v11, v36 dst_sel:DWORD dst_unused:UNUSED_PAD src0_sel:DWORD src1_sel:WORD_1
	v_fma_f16 v32, v20, v30, -v32
	v_mul_f16_sdwa v20, v3, v37 dst_sel:DWORD dst_unused:UNUSED_PAD src0_sel:DWORD src1_sel:WORD_1
	v_fma_f16 v31, v24, v29, v31
	v_mul_f16_sdwa v43, v1, v36 dst_sel:DWORD dst_unused:UNUSED_PAD src0_sel:DWORD src1_sel:WORD_1
	v_fma_f16 v35, v25, v30, v35
	v_mul_f16_sdwa v30, v2, v37 dst_sel:DWORD dst_unused:UNUSED_PAD src0_sel:DWORD src1_sel:WORD_1
	v_fma_f16 v24, v18, v33, -v39
	v_fma_f16 v33, v23, v33, v40
	v_fma_f16 v29, v17, v34, -v41
	v_fma_f16 v34, v21, v34, v42
	v_fma_f16 v21, v1, v36, -v19
	v_fma_f16 v23, v2, v37, -v20
	v_fma_f16 v25, v11, v36, v43
	v_fma_f16 v30, v3, v37, v30
	v_add_f16_e32 v2, v28, v32
	v_add_f16_e32 v17, v24, v29
	v_add_f16_e32 v20, v21, v23
	v_add_f16_e32 v1, v13, v28
	v_sub_f16_e32 v3, v31, v35
	v_add_f16_e32 v11, v14, v24
	v_add_f16_e32 v19, v0, v21
	v_sub_f16_e32 v36, v25, v30
	v_fma_f16 v2, v2, -0.5, v13
	v_fma_f16 v13, v17, -0.5, v14
	;; [unrolled: 1-line block ×3, first 2 shown]
	v_sub_f16_e32 v18, v33, v34
	v_add_f16_e32 v37, v1, v32
	v_add_f16_e32 v1, v19, v23
	v_fma_f16 v17, v3, s4, v2
	v_fma_f16 v2, v3, s5, v2
	;; [unrolled: 1-line block ×4, first 2 shown]
	v_lshlrev_b32_e32 v36, 1, v38
	v_add_f16_e32 v11, v11, v29
	v_fma_f16 v19, v18, s4, v13
	v_fma_f16 v13, v18, s5, v13
	ds_write_b16 v27, v37
	ds_write_b16 v27, v17 offset:6
	ds_write_b16 v27, v2 offset:12
	ds_write_b16 v26, v11
	ds_write_b16 v26, v19 offset:6
	ds_write_b16 v26, v13 offset:12
	s_and_saveexec_b64 s[4:5], s[0:1]
	s_cbranch_execz .LBB0_25
; %bb.24:
	v_lshlrev_b32_e32 v2, 1, v22
	v_add3_u32 v2, 0, v36, v2
	ds_write_b16 v2, v1
	ds_write_b16 v2, v0 offset:6
	ds_write_b16 v2, v3 offset:12
.LBB0_25:
	s_or_b64 exec, exec, s[4:5]
	s_waitcnt lgkmcnt(0)
	s_barrier
	ds_read_u16 v18, v9 offset:1296
	ds_read_u16 v17, v9 offset:3078
	;; [unrolled: 1-line block ×4, first 2 shown]
	ds_read_u16 v13, v9
	ds_read_u16 v14, v10
	v_lshl_add_u32 v11, v6, 1, 0
	s_and_saveexec_b64 s[4:5], s[0:1]
	s_cbranch_execz .LBB0_27
; %bb.26:
	ds_read_u16 v0, v9 offset:2268
	ds_read_u16 v1, v11 offset:972
	;; [unrolled: 1-line block ×3, first 2 shown]
.LBB0_27:
	s_or_b64 exec, exec, s[4:5]
	v_add_f16_e32 v2, v16, v31
	v_add_f16_e32 v37, v2, v35
	;; [unrolled: 1-line block ×3, first 2 shown]
	v_fma_f16 v2, v2, -0.5, v16
	v_sub_f16_e32 v16, v28, v32
	s_mov_b32 s4, 0xbaee
	s_movk_i32 s5, 0x3aee
	v_fma_f16 v28, v16, s4, v2
	v_fma_f16 v16, v16, s5, v2
	v_add_f16_e32 v2, v15, v33
	v_add_f16_e32 v31, v2, v34
	;; [unrolled: 1-line block ×3, first 2 shown]
	v_fma_f16 v2, v2, -0.5, v15
	v_sub_f16_e32 v15, v24, v29
	v_fma_f16 v24, v15, s4, v2
	v_fma_f16 v15, v15, s5, v2
	v_add_f16_e32 v2, v12, v25
	v_add_f16_e32 v25, v25, v30
	v_fma_f16 v25, v25, -0.5, v12
	v_sub_f16_e32 v21, v21, v23
	v_add_f16_e32 v2, v2, v30
	v_fma_f16 v12, v21, s4, v25
	v_fma_f16 v21, v21, s5, v25
	s_waitcnt lgkmcnt(0)
	s_barrier
	ds_write_b16 v27, v37
	ds_write_b16 v27, v28 offset:6
	ds_write_b16 v27, v16 offset:12
	ds_write_b16 v26, v31
	ds_write_b16 v26, v24 offset:6
	ds_write_b16 v26, v15 offset:12
	s_and_saveexec_b64 s[4:5], s[0:1]
	s_cbranch_execz .LBB0_29
; %bb.28:
	v_lshlrev_b32_e32 v15, 1, v22
	v_add3_u32 v15, 0, v36, v15
	ds_write_b16 v15, v2
	ds_write_b16 v15, v12 offset:6
	ds_write_b16 v15, v21 offset:12
.LBB0_29:
	s_or_b64 exec, exec, s[4:5]
	s_waitcnt lgkmcnt(0)
	s_barrier
	ds_read_u16 v23, v9 offset:1296
	ds_read_u16 v22, v9 offset:3078
	;; [unrolled: 1-line block ×4, first 2 shown]
	ds_read_u16 v16, v9
	ds_read_u16 v15, v10
	s_and_saveexec_b64 s[4:5], s[0:1]
	s_cbranch_execz .LBB0_31
; %bb.30:
	ds_read_u16 v12, v9 offset:2268
	ds_read_u16 v2, v11 offset:972
	;; [unrolled: 1-line block ×3, first 2 shown]
.LBB0_31:
	s_or_b64 exec, exec, s[4:5]
	v_mov_b32_e32 v26, 57
	v_mul_lo_u16_sdwa v26, v6, v26 dst_sel:DWORD dst_unused:UNUSED_PAD src0_sel:BYTE_0 src1_sel:DWORD
	s_mov_b32 s4, 0xe38f
	v_lshrrev_b16_e32 v26, 9, v26
	v_mul_u32_u24_sdwa v29, v7, s4 dst_sel:DWORD dst_unused:UNUSED_PAD src0_sel:WORD_0 src1_sel:DWORD
	v_mul_lo_u16_e32 v27, 9, v26
	v_lshrrev_b32_e32 v31, 19, v29
	v_sub_u16_e32 v27, v6, v27
	v_mov_b32_e32 v28, 3
	v_mul_lo_u16_e32 v29, 9, v31
	v_lshlrev_b32_sdwa v28, v28, v27 dst_sel:DWORD dst_unused:UNUSED_PAD src0_sel:DWORD src1_sel:BYTE_0
	v_sub_u16_e32 v32, v7, v29
	v_mul_u32_u24_sdwa v33, v8, s4 dst_sel:DWORD dst_unused:UNUSED_PAD src0_sel:WORD_0 src1_sel:DWORD
	global_load_dwordx2 v[29:30], v28, s[8:9] offset:24
	v_lshlrev_b32_e32 v28, 3, v32
	v_lshrrev_b32_e32 v33, 19, v33
	global_load_dwordx2 v[36:37], v28, s[8:9] offset:24
	v_mul_lo_u16_e32 v28, 9, v33
	v_sub_u16_e32 v40, v8, v28
	v_lshlrev_b32_e32 v28, 3, v40
	global_load_dwordx2 v[38:39], v28, s[8:9] offset:24
	v_mov_b32_e32 v28, 1
	v_mul_u32_u24_e32 v31, 54, v31
	v_lshlrev_b32_sdwa v27, v28, v27 dst_sel:DWORD dst_unused:UNUSED_PAD src0_sel:DWORD src1_sel:BYTE_0
	v_lshlrev_b32_e32 v28, 1, v32
	v_mul_u32_u24_e32 v34, 54, v26
	v_mul_lo_u16_e32 v26, 27, v33
	v_add3_u32 v28, 0, v31, v28
	v_add3_u32 v27, 0, v34, v27
	s_movk_i32 s4, 0x3aee
	s_mov_b32 s5, 0xbaee
	s_waitcnt vmcnt(0) lgkmcnt(0)
	s_barrier
	v_mul_f16_sdwa v31, v23, v29 dst_sel:DWORD dst_unused:UNUSED_PAD src0_sel:DWORD src1_sel:WORD_1
	v_mul_f16_sdwa v32, v18, v29 dst_sel:DWORD dst_unused:UNUSED_PAD src0_sel:DWORD src1_sel:WORD_1
	;; [unrolled: 1-line block ×10, first 2 shown]
	v_fma_f16 v31, v18, v29, -v31
	v_fma_f16 v34, v23, v29, v32
	v_fma_f16 v33, v20, v30, -v33
	v_fma_f16 v35, v25, v30, v35
	v_fma_f16 v25, v19, v36, -v41
	v_fma_f16 v29, v17, v37, -v43
	v_mul_f16_sdwa v46, v0, v38 dst_sel:DWORD dst_unused:UNUSED_PAD src0_sel:DWORD src1_sel:WORD_1
	v_mul_f16_sdwa v48, v3, v39 dst_sel:DWORD dst_unused:UNUSED_PAD src0_sel:DWORD src1_sel:WORD_1
	v_fma_f16 v30, v24, v36, v42
	v_fma_f16 v32, v22, v37, v44
	v_fma_f16 v22, v0, v38, -v45
	v_fma_f16 v23, v3, v39, -v47
	v_add_f16_e32 v3, v31, v33
	v_add_f16_e32 v18, v25, v29
	v_fma_f16 v24, v12, v38, v46
	v_fma_f16 v21, v21, v39, v48
	v_add_f16_e32 v0, v13, v31
	v_sub_f16_e32 v19, v30, v32
	v_add_f16_e32 v36, v22, v23
	v_fma_f16 v3, v3, -0.5, v13
	v_fma_f16 v13, v18, -0.5, v14
	v_sub_f16_e32 v12, v34, v35
	v_add_f16_e32 v17, v14, v25
	v_add_f16_e32 v20, v1, v22
	v_sub_f16_e32 v37, v24, v21
	v_add_f16_e32 v14, v0, v33
	v_fma_f16 v1, v36, -0.5, v1
	v_fma_f16 v36, v19, s4, v13
	v_add_f16_e32 v17, v17, v29
	v_add_f16_e32 v0, v20, v23
	v_fma_f16 v18, v12, s4, v3
	v_fma_f16 v20, v12, s5, v3
	;; [unrolled: 1-line block ×5, first 2 shown]
	ds_write_b16 v27, v14
	ds_write_b16 v27, v18 offset:18
	ds_write_b16 v27, v20 offset:36
	ds_write_b16 v28, v17
	ds_write_b16 v28, v36 offset:18
	ds_write_b16 v28, v13 offset:36
	v_lshlrev_b32_e32 v36, 1, v40
	s_and_saveexec_b64 s[4:5], s[0:1]
	s_cbranch_execz .LBB0_33
; %bb.32:
	v_lshlrev_b32_e32 v1, 1, v26
	v_add3_u32 v1, 0, v36, v1
	ds_write_b16 v1, v0
	ds_write_b16 v1, v3 offset:18
	ds_write_b16 v1, v12 offset:36
.LBB0_33:
	s_or_b64 exec, exec, s[4:5]
	s_waitcnt lgkmcnt(0)
	s_barrier
	ds_read_u16 v19, v9 offset:1296
	ds_read_u16 v14, v9 offset:3078
	;; [unrolled: 1-line block ×4, first 2 shown]
	ds_read_u16 v18, v9
	ds_read_u16 v13, v10
	s_and_saveexec_b64 s[4:5], s[0:1]
	s_cbranch_execz .LBB0_35
; %bb.34:
	ds_read_u16 v3, v9 offset:2268
	ds_read_u16 v0, v11 offset:972
	;; [unrolled: 1-line block ×3, first 2 shown]
.LBB0_35:
	s_or_b64 exec, exec, s[4:5]
	v_add_f16_e32 v1, v16, v34
	v_add_f16_e32 v37, v1, v35
	;; [unrolled: 1-line block ×3, first 2 shown]
	v_fma_f16 v1, v1, -0.5, v16
	v_sub_f16_e32 v16, v31, v33
	s_mov_b32 s4, 0xbaee
	s_movk_i32 s5, 0x3aee
	v_fma_f16 v31, v16, s4, v1
	v_fma_f16 v33, v16, s5, v1
	v_add_f16_e32 v1, v15, v30
	v_add_f16_e32 v34, v1, v32
	;; [unrolled: 1-line block ×3, first 2 shown]
	v_fma_f16 v1, v1, -0.5, v15
	v_sub_f16_e32 v15, v25, v29
	v_fma_f16 v25, v15, s4, v1
	v_fma_f16 v15, v15, s5, v1
	v_add_f16_e32 v1, v2, v24
	v_add_f16_e32 v16, v24, v21
	;; [unrolled: 1-line block ×3, first 2 shown]
	v_fma_f16 v2, v16, -0.5, v2
	v_sub_f16_e32 v21, v22, v23
	v_fma_f16 v16, v21, s4, v2
	v_fma_f16 v21, v21, s5, v2
	s_waitcnt lgkmcnt(0)
	s_barrier
	ds_write_b16 v27, v37
	ds_write_b16 v27, v31 offset:18
	ds_write_b16 v27, v33 offset:36
	ds_write_b16 v28, v34
	ds_write_b16 v28, v25 offset:18
	ds_write_b16 v28, v15 offset:36
	s_and_saveexec_b64 s[4:5], s[0:1]
	s_cbranch_execz .LBB0_37
; %bb.36:
	v_lshlrev_b32_e32 v2, 1, v26
	v_add3_u32 v2, 0, v36, v2
	ds_write_b16 v2, v1
	ds_write_b16 v2, v16 offset:18
	ds_write_b16 v2, v21 offset:36
.LBB0_37:
	s_or_b64 exec, exec, s[4:5]
	s_waitcnt lgkmcnt(0)
	s_barrier
	ds_read_u16 v25, v9 offset:1296
	ds_read_u16 v23, v9 offset:3078
	ds_read_u16 v26, v9 offset:2592
	ds_read_u16 v24, v9 offset:1782
	ds_read_u16 v15, v9
	ds_read_u16 v2, v10
	s_and_saveexec_b64 s[4:5], s[0:1]
	s_cbranch_execz .LBB0_39
; %bb.38:
	ds_read_u16 v16, v9 offset:2268
	ds_read_u16 v1, v11 offset:972
	;; [unrolled: 1-line block ×3, first 2 shown]
.LBB0_39:
	s_or_b64 exec, exec, s[4:5]
	v_mov_b32_e32 v22, 19
	v_mul_lo_u16_sdwa v22, v6, v22 dst_sel:DWORD dst_unused:UNUSED_PAD src0_sel:BYTE_0 src1_sel:DWORD
	v_lshrrev_b16_e32 v27, 9, v22
	s_movk_i32 s4, 0x2f69
	v_mul_lo_u16_e32 v22, 27, v27
	v_mul_u32_u24_sdwa v31, v7, s4 dst_sel:DWORD dst_unused:UNUSED_PAD src0_sel:WORD_0 src1_sel:DWORD
	v_sub_u16_e32 v28, v6, v22
	v_mov_b32_e32 v22, 3
	v_sub_u16_sdwa v29, v7, v31 dst_sel:DWORD dst_unused:UNUSED_PAD src0_sel:DWORD src1_sel:WORD_1
	v_lshlrev_b32_sdwa v22, v22, v28 dst_sel:DWORD dst_unused:UNUSED_PAD src0_sel:DWORD src1_sel:BYTE_0
	v_lshrrev_b16_e32 v32, 1, v29
	global_load_dwordx2 v[29:30], v22, s[8:9] offset:96
	v_add_u16_sdwa v22, v32, v31 dst_sel:DWORD dst_unused:UNUSED_PAD src0_sel:DWORD src1_sel:WORD_1
	v_lshrrev_b16_e32 v35, 4, v22
	v_mul_lo_u16_e32 v22, 27, v35
	v_sub_u16_e32 v36, v7, v22
	v_mul_u32_u24_sdwa v22, v8, s4 dst_sel:DWORD dst_unused:UNUSED_PAD src0_sel:WORD_0 src1_sel:DWORD
	v_sub_u16_sdwa v32, v8, v22 dst_sel:DWORD dst_unused:UNUSED_PAD src0_sel:DWORD src1_sel:WORD_1
	v_lshrrev_b16_e32 v32, 1, v32
	v_add_u16_sdwa v22, v32, v22 dst_sel:DWORD dst_unused:UNUSED_PAD src0_sel:DWORD src1_sel:WORD_1
	v_lshrrev_b16_e32 v22, 4, v22
	v_mul_lo_u16_e32 v33, 27, v22
	v_sub_u16_e32 v37, v8, v33
	v_lshlrev_b32_e32 v31, 3, v36
	v_lshlrev_b32_e32 v33, 3, v37
	global_load_dwordx2 v[31:32], v31, s[8:9] offset:96
	v_mov_b32_e32 v38, 1
	global_load_dwordx2 v[33:34], v33, s[8:9] offset:96
	v_mul_u32_u24_e32 v27, 0xa2, v27
	v_lshlrev_b32_sdwa v28, v38, v28 dst_sel:DWORD dst_unused:UNUSED_PAD src0_sel:DWORD src1_sel:BYTE_0
	v_add3_u32 v27, 0, v27, v28
	v_mul_u32_u24_e32 v28, 0xa2, v35
	v_lshlrev_b32_e32 v35, 1, v36
	v_add3_u32 v28, 0, v28, v35
	s_movk_i32 s6, 0x3aee
	s_mov_b32 s7, 0xbaee
	s_waitcnt vmcnt(0) lgkmcnt(0)
	s_barrier
	v_mul_f16_sdwa v35, v25, v29 dst_sel:DWORD dst_unused:UNUSED_PAD src0_sel:DWORD src1_sel:WORD_1
	v_mul_f16_sdwa v38, v26, v30 dst_sel:DWORD dst_unused:UNUSED_PAD src0_sel:DWORD src1_sel:WORD_1
	;; [unrolled: 1-line block ×4, first 2 shown]
	v_fma_f16 v19, v19, v29, -v35
	v_fma_f16 v20, v20, v30, -v38
	v_fma_f16 v25, v25, v29, v36
	v_fma_f16 v26, v26, v30, v39
	v_add_f16_e32 v30, v19, v20
	v_add_f16_e32 v29, v18, v19
	v_sub_f16_e32 v35, v25, v26
	v_fma_f16 v43, v30, -0.5, v18
	v_add_f16_e32 v46, v29, v20
	ds_write_b16 v27, v46
	v_mul_f16_sdwa v36, v24, v31 dst_sel:DWORD dst_unused:UNUSED_PAD src0_sel:DWORD src1_sel:WORD_1
	v_mul_f16_sdwa v39, v23, v32 dst_sel:DWORD dst_unused:UNUSED_PAD src0_sel:DWORD src1_sel:WORD_1
	;; [unrolled: 1-line block ×8, first 2 shown]
	v_fma_f16 v17, v17, v31, -v36
	v_fma_f16 v18, v14, v32, -v39
	;; [unrolled: 1-line block ×3, first 2 shown]
	v_fma_f16 v3, v16, v33, v42
	v_fma_f16 v16, v12, v34, -v44
	v_fma_f16 v29, v24, v31, v38
	v_fma_f16 v30, v23, v32, v40
	;; [unrolled: 1-line block ×5, first 2 shown]
	v_add_f16_e32 v31, v13, v17
	v_add_f16_e32 v32, v17, v18
	;; [unrolled: 1-line block ×3, first 2 shown]
	v_sub_f16_e32 v33, v29, v30
	v_sub_f16_e32 v21, v3, v23
	ds_write_b16 v27, v12 offset:54
	ds_write_b16 v27, v24 offset:108
	v_add_f16_e32 v24, v31, v18
	v_fma_f16 v12, v32, -0.5, v13
	v_fma_f16 v13, v34, -0.5, v0
	v_fma_f16 v31, v33, s6, v12
	v_fma_f16 v32, v33, s7, v12
	;; [unrolled: 1-line block ×3, first 2 shown]
	ds_write_b16 v28, v24
	ds_write_b16 v28, v31 offset:54
	ds_write_b16 v28, v32 offset:108
	v_lshlrev_b32_e32 v24, 1, v37
	s_and_saveexec_b64 s[4:5], s[0:1]
	s_cbranch_execz .LBB0_41
; %bb.40:
	v_mul_f16_e32 v21, 0x3aee, v21
	v_add_f16_e32 v13, v21, v13
	v_mul_lo_u16_e32 v21, 0x51, v22
	v_add_f16_e32 v0, v0, v14
	v_lshlrev_b32_e32 v21, 1, v21
	v_add_f16_e32 v0, v0, v16
	v_add3_u32 v21, 0, v24, v21
	ds_write_b16 v21, v0
	ds_write_b16 v21, v13 offset:54
	ds_write_b16 v21, v12 offset:108
.LBB0_41:
	s_or_b64 exec, exec, s[4:5]
	v_add_f16_e32 v0, v15, v25
	v_add_f16_e32 v31, v0, v26
	;; [unrolled: 1-line block ×3, first 2 shown]
	v_fma_f16 v0, v0, -0.5, v15
	v_sub_f16_e32 v13, v19, v20
	v_fma_f16 v25, v13, s7, v0
	v_fma_f16 v26, v13, s6, v0
	v_add_f16_e32 v0, v2, v29
	v_add_f16_e32 v32, v0, v30
	;; [unrolled: 1-line block ×3, first 2 shown]
	v_fma_f16 v0, v0, -0.5, v2
	v_sub_f16_e32 v2, v17, v18
	v_fma_f16 v29, v2, s7, v0
	v_fma_f16 v30, v2, s6, v0
	v_sub_f16_e32 v2, v14, v16
	s_waitcnt lgkmcnt(0)
	s_barrier
	ds_read_u16 v16, v9 offset:1458
	ds_read_u16 v15, v9 offset:1944
	;; [unrolled: 1-line block ×6, first 2 shown]
	ds_read_u16 v14, v9
	ds_read_u16 v18, v10
	v_add_f16_e32 v0, v3, v23
	v_fma_f16 v0, v0, -0.5, v1
	v_fma_f16 v13, v2, s6, v0
	s_waitcnt lgkmcnt(0)
	s_barrier
	ds_write_b16 v27, v31
	ds_write_b16 v27, v25 offset:54
	ds_write_b16 v27, v26 offset:108
	ds_write_b16 v28, v32
	ds_write_b16 v28, v29 offset:54
	ds_write_b16 v28, v30 offset:108
	s_and_saveexec_b64 s[4:5], s[0:1]
	s_cbranch_execz .LBB0_43
; %bb.42:
	v_mul_f16_e32 v2, 0x3aee, v2
	v_sub_f16_e32 v0, v0, v2
	v_mul_lo_u16_e32 v2, 0x51, v22
	v_add_f16_e32 v1, v1, v3
	v_lshlrev_b32_e32 v2, 1, v2
	v_add_f16_e32 v1, v1, v23
	v_add3_u32 v2, 0, v24, v2
	ds_write_b16 v2, v1
	ds_write_b16 v2, v0 offset:54
	ds_write_b16 v2, v13 offset:108
.LBB0_43:
	s_or_b64 exec, exec, s[4:5]
	s_movk_i32 s4, 0xcb
	v_mul_lo_u16_sdwa v0, v6, s4 dst_sel:DWORD dst_unused:UNUSED_PAD src0_sel:BYTE_0 src1_sel:DWORD
	v_lshrrev_b16_e32 v24, 14, v0
	v_mul_lo_u16_e32 v0, 0x51, v24
	v_sub_u16_e32 v28, v6, v0
	v_mov_b32_e32 v0, 7
	v_mul_u32_u24_sdwa v0, v28, v0 dst_sel:DWORD dst_unused:UNUSED_PAD src0_sel:BYTE_0 src1_sel:DWORD
	v_lshlrev_b32_e32 v22, 2, v0
	s_waitcnt lgkmcnt(0)
	s_barrier
	global_load_dwordx3 v[25:27], v22, s[8:9] offset:328
	global_load_dwordx4 v[0:3], v22, s[8:9] offset:312
	ds_read_u16 v29, v10
	ds_read_u16 v22, v9
	ds_read_u16 v30, v9 offset:1458
	ds_read_u16 v23, v9 offset:1944
	;; [unrolled: 1-line block ×6, first 2 shown]
	v_mov_b32_e32 v33, 1
	v_mul_u32_u24_e32 v24, 0x510, v24
	v_lshlrev_b32_sdwa v28, v33, v28 dst_sel:DWORD dst_unused:UNUSED_PAD src0_sel:DWORD src1_sel:BYTE_0
	v_add3_u32 v24, 0, v24, v28
	s_movk_i32 s4, 0x39a8
	s_mov_b32 s5, 0xb9a8
	s_waitcnt vmcnt(0) lgkmcnt(0)
	s_barrier
	v_mul_f16_sdwa v28, v31, v25 dst_sel:DWORD dst_unused:UNUSED_PAD src0_sel:DWORD src1_sel:WORD_1
	v_mul_f16_sdwa v33, v21, v25 dst_sel:DWORD dst_unused:UNUSED_PAD src0_sel:DWORD src1_sel:WORD_1
	;; [unrolled: 1-line block ×13, first 2 shown]
	v_fma_f16 v21, v21, v25, -v28
	v_fma_f16 v28, v31, v25, v33
	v_fma_f16 v19, v19, v26, -v36
	v_fma_f16 v25, v32, v26, v37
	;; [unrolled: 2-line block ×6, first 2 shown]
	v_fma_f16 v1, v15, v3, -v46
	v_sub_f16_e32 v29, v14, v1
	v_sub_f16_e32 v1, v17, v19
	;; [unrolled: 1-line block ×7, first 2 shown]
	v_fma_f16 v14, v14, 2.0, -v29
	v_fma_f16 v17, v17, 2.0, -v1
	;; [unrolled: 1-line block ×6, first 2 shown]
	v_sub_f16_e32 v30, v29, v25
	v_sub_f16_e32 v33, v19, v28
	v_add_f16_e32 v34, v21, v20
	v_sub_f16_e32 v17, v14, v17
	v_fma_f16 v20, v29, 2.0, -v30
	v_sub_f16_e32 v27, v18, v16
	v_sub_f16_e32 v28, v26, v2
	v_fma_f16 v29, v19, 2.0, -v33
	v_fma_f16 v32, v21, 2.0, -v34
	v_fma_f16 v16, v33, s4, v30
	v_fma_f16 v19, v14, 2.0, -v17
	v_fma_f16 v18, v18, 2.0, -v27
	v_sub_f16_e32 v2, v17, v28
	v_fma_f16 v21, v29, s5, v20
	v_fma_f16 v14, v34, s5, v16
	v_fma_f16 v16, v17, 2.0, -v2
	v_sub_f16_e32 v17, v19, v18
	v_fma_f16 v18, v32, s5, v21
	v_fma_f16 v21, v30, 2.0, -v14
	ds_write_b16 v24, v16 offset:324
	v_fma_f16 v16, v19, 2.0, -v17
	v_fma_f16 v19, v20, 2.0, -v18
	ds_write_b16 v24, v21 offset:486
	ds_write_b16 v24, v17 offset:648
	;; [unrolled: 1-line block ×3, first 2 shown]
	ds_write_b16 v24, v16
	ds_write_b16 v24, v19 offset:162
	ds_write_b16 v24, v2 offset:972
	;; [unrolled: 1-line block ×3, first 2 shown]
	s_waitcnt lgkmcnt(0)
	s_barrier
	ds_read_u16 v20, v9 offset:3078
	ds_read_u16 v18, v9 offset:2592
	;; [unrolled: 1-line block ×4, first 2 shown]
	ds_read_u16 v16, v9
	ds_read_u16 v17, v10
	v_mul_f16_e32 v31, 0x39a8, v29
	v_mul_f16_e32 v32, 0x39a8, v32
	;; [unrolled: 1-line block ×4, first 2 shown]
	s_and_saveexec_b64 s[4:5], s[0:1]
	s_cbranch_execz .LBB0_45
; %bb.44:
	ds_read_u16 v14, v9 offset:2268
	ds_read_u16 v2, v11 offset:972
	;; [unrolled: 1-line block ×3, first 2 shown]
.LBB0_45:
	s_or_b64 exec, exec, s[4:5]
	v_mul_f16_sdwa v15, v15, v3 dst_sel:DWORD dst_unused:UNUSED_PAD src0_sel:DWORD src1_sel:WORD_1
	v_fma_f16 v3, v23, v3, v15
	v_sub_f16_e32 v3, v22, v3
	v_fma_f16 v15, v22, 2.0, -v3
	v_fma_f16 v0, v0, 2.0, -v25
	v_sub_f16_e32 v0, v15, v0
	v_fma_f16 v15, v15, 2.0, -v0
	v_add_f16_e32 v1, v3, v1
	v_fma_f16 v22, v26, 2.0, -v28
	v_fma_f16 v3, v3, 2.0, -v1
	v_sub_f16_e32 v22, v15, v22
	v_fma_f16 v23, v15, 2.0, -v22
	v_sub_f16_e32 v15, v3, v32
	v_add_f16_e32 v25, v31, v15
	v_add_f16_e32 v15, v1, v30
	v_fma_f16 v26, v3, 2.0, -v25
	v_add_f16_e32 v3, v0, v27
	v_add_f16_e32 v15, v29, v15
	v_fma_f16 v0, v0, 2.0, -v3
	v_fma_f16 v1, v1, 2.0, -v15
	s_waitcnt lgkmcnt(0)
	s_barrier
	ds_write_b16 v24, v23
	ds_write_b16 v24, v26 offset:162
	ds_write_b16 v24, v0 offset:324
	;; [unrolled: 1-line block ×7, first 2 shown]
	s_waitcnt lgkmcnt(0)
	s_barrier
	ds_read_u16 v23, v9 offset:1296
	ds_read_u16 v25, v9 offset:3078
	;; [unrolled: 1-line block ×4, first 2 shown]
	ds_read_u16 v22, v9
	ds_read_u16 v10, v10
	s_and_saveexec_b64 s[4:5], s[0:1]
	s_cbranch_execz .LBB0_47
; %bb.46:
	ds_read_u16 v15, v9 offset:2268
	ds_read_u16 v3, v11 offset:972
	;; [unrolled: 1-line block ×3, first 2 shown]
.LBB0_47:
	s_or_b64 exec, exec, s[4:5]
	s_and_saveexec_b64 s[4:5], vcc
	s_cbranch_execz .LBB0_50
; %bb.48:
	v_lshlrev_b32_e32 v0, 1, v7
	v_mov_b32_e32 v1, 0
	v_lshlrev_b64 v[27:28], 2, v[0:1]
	v_lshlrev_b32_e32 v0, 1, v6
	v_mov_b32_e32 v7, s9
	v_add_co_u32_e32 v27, vcc, s8, v27
	v_lshlrev_b64 v[29:30], 2, v[0:1]
	v_addc_co_u32_e32 v28, vcc, v7, v28, vcc
	v_add_co_u32_e32 v29, vcc, s8, v29
	global_load_dwordx2 v[27:28], v[27:28], off offset:2580
	v_addc_co_u32_e32 v30, vcc, v7, v30, vcc
	global_load_dwordx2 v[29:30], v[29:30], off offset:2580
	v_mad_u64_u32 v[31:32], s[4:5], s2, v6, 0
	v_add_u32_e32 v9, 0x288, v6
	v_mad_u64_u32 v[33:34], s[6:7], s2, v9, 0
	v_mov_b32_e32 v0, s13
	v_add_co_u32_e32 v4, vcc, s12, v4
	v_addc_co_u32_e32 v5, vcc, v0, v5, vcc
	v_mov_b32_e32 v0, v32
	v_mov_b32_e32 v7, v34
	v_mad_u64_u32 v[34:35], s[6:7], s3, v6, v[0:1]
	v_mad_u64_u32 v[35:36], s[6:7], s3, v9, v[7:8]
	v_mov_b32_e32 v32, v34
	v_add_u32_e32 v11, 0x510, v6
	v_mov_b32_e32 v34, v35
	v_mad_u64_u32 v[36:37], s[6:7], s2, v11, 0
	s_movk_i32 s4, 0x3aee
	s_mov_b32 s5, 0xbaee
	v_lshlrev_b64 v[31:32], 2, v[31:32]
	v_lshlrev_b64 v[33:34], 2, v[33:34]
	v_add_co_u32_e32 v31, vcc, v4, v31
	v_addc_co_u32_e32 v32, vcc, v5, v32, vcc
	s_waitcnt vmcnt(1) lgkmcnt(2)
	v_mul_f16_sdwa v0, v26, v27 dst_sel:DWORD dst_unused:UNUSED_PAD src0_sel:DWORD src1_sel:WORD_1
	v_mul_f16_sdwa v7, v21, v27 dst_sel:DWORD dst_unused:UNUSED_PAD src0_sel:DWORD src1_sel:WORD_1
	v_mul_f16_sdwa v9, v25, v28 dst_sel:DWORD dst_unused:UNUSED_PAD src0_sel:DWORD src1_sel:WORD_1
	v_mul_f16_sdwa v35, v20, v28 dst_sel:DWORD dst_unused:UNUSED_PAD src0_sel:DWORD src1_sel:WORD_1
	v_fma_f16 v0, v21, v27, -v0
	v_fma_f16 v7, v26, v27, v7
	v_fma_f16 v9, v20, v28, -v9
	v_fma_f16 v20, v25, v28, v35
	s_waitcnt vmcnt(0)
	v_mul_f16_sdwa v21, v23, v29 dst_sel:DWORD dst_unused:UNUSED_PAD src0_sel:DWORD src1_sel:WORD_1
	v_mul_f16_sdwa v25, v24, v30 dst_sel:DWORD dst_unused:UNUSED_PAD src0_sel:DWORD src1_sel:WORD_1
	;; [unrolled: 1-line block ×4, first 2 shown]
	v_fma_f16 v19, v19, v29, -v21
	v_fma_f16 v18, v18, v30, -v25
	v_sub_f16_e32 v21, v0, v9
	v_fma_f16 v23, v23, v29, v26
	v_add_f16_e32 v25, v7, v20
	v_fma_f16 v24, v24, v30, v27
	v_add_f16_e32 v26, v0, v9
	v_sub_f16_e32 v27, v7, v20
	s_waitcnt lgkmcnt(0)
	v_add_f16_e32 v7, v10, v7
	v_add_f16_e32 v0, v17, v0
	v_fma_f16 v10, v25, -0.5, v10
	v_add_f16_e32 v7, v7, v20
	v_add_f16_e32 v20, v0, v9
	;; [unrolled: 1-line block ×4, first 2 shown]
	v_fma_f16 v17, v26, -0.5, v17
	v_sub_f16_e32 v0, v19, v18
	v_sub_f16_e32 v26, v23, v24
	v_add_f16_e32 v19, v16, v19
	v_fma_f16 v28, v21, s4, v10
	v_fma_f16 v21, v21, s5, v10
	v_fma_f16 v9, v9, -0.5, v22
	v_fma_f16 v10, v25, -0.5, v16
	v_add_f16_e32 v23, v22, v23
	v_fma_f16 v29, v27, s5, v17
	v_fma_f16 v27, v27, s4, v17
	v_add_f16_e32 v17, v19, v18
	v_fma_f16 v22, v0, s4, v9
	v_fma_f16 v0, v0, s5, v9
	;; [unrolled: 1-line block ×3, first 2 shown]
	v_add_f16_e32 v16, v23, v24
	v_pack_b32_f16 v19, v18, v0
	v_mov_b32_e32 v0, v37
	v_pack_b32_f16 v9, v17, v16
	v_mad_u64_u32 v[16:17], s[6:7], s3, v11, v[0:1]
	v_add_u32_e32 v11, 0xf3, v6
	v_mad_u64_u32 v[17:18], s[6:7], s2, v11, 0
	global_store_dword v[31:32], v9, off
	v_add_co_u32_e32 v9, vcc, v4, v33
	v_fma_f16 v23, v26, s5, v10
	v_addc_co_u32_e32 v10, vcc, v5, v34, vcc
	v_mov_b32_e32 v37, v16
	v_mov_b32_e32 v0, v18
	global_store_dword v[9:10], v19, off
	v_lshlrev_b64 v[9:10], 2, v[36:37]
	v_mad_u64_u32 v[18:19], s[6:7], s3, v11, v[0:1]
	v_add_co_u32_e32 v9, vcc, v4, v9
	v_addc_co_u32_e32 v10, vcc, v5, v10, vcc
	v_pack_b32_f16 v0, v23, v22
	v_add_u32_e32 v11, 0x37b, v6
	global_store_dword v[9:10], v0, off
	v_lshlrev_b64 v[9:10], 2, v[17:18]
	v_mad_u64_u32 v[16:17], s[6:7], s2, v11, 0
	v_add_co_u32_e32 v9, vcc, v4, v9
	v_mov_b32_e32 v0, v17
	v_mad_u64_u32 v[17:18], s[6:7], s3, v11, v[0:1]
	v_add_u32_e32 v11, 0x603, v6
	v_mad_u64_u32 v[18:19], s[6:7], s2, v11, 0
	v_addc_co_u32_e32 v10, vcc, v5, v10, vcc
	v_pack_b32_f16 v7, v20, v7
	v_mov_b32_e32 v0, v19
	global_store_dword v[9:10], v7, off
	v_lshlrev_b64 v[9:10], 2, v[16:17]
	v_mad_u64_u32 v[16:17], s[6:7], s3, v11, v[0:1]
	v_add_co_u32_e32 v9, vcc, v4, v9
	v_addc_co_u32_e32 v10, vcc, v5, v10, vcc
	v_pack_b32_f16 v0, v27, v21
	v_mov_b32_e32 v19, v16
	global_store_dword v[9:10], v0, off
	v_lshlrev_b64 v[9:10], 2, v[18:19]
	v_pack_b32_f16 v0, v29, v28
	v_add_co_u32_e32 v9, vcc, v4, v9
	v_addc_co_u32_e32 v10, vcc, v5, v10, vcc
	global_store_dword v[9:10], v0, off
	s_and_b64 exec, exec, s[0:1]
	s_cbranch_execz .LBB0_50
; %bb.49:
	v_add_u32_e32 v0, 0xffffff5e, v6
	v_cndmask_b32_e64 v0, v0, v8, s[0:1]
	v_lshlrev_b32_e32 v0, 1, v0
	v_lshlrev_b64 v[0:1], 2, v[0:1]
	v_mov_b32_e32 v7, s9
	v_add_co_u32_e32 v0, vcc, s8, v0
	v_addc_co_u32_e32 v1, vcc, v7, v1, vcc
	global_load_dwordx2 v[0:1], v[0:1], off offset:2580
	v_add_u32_e32 v19, 0x6f6, v6
	v_mad_u64_u32 v[9:10], s[0:1], s2, v8, 0
	v_add_u32_e32 v18, 0x46e, v6
	v_mad_u64_u32 v[16:17], s[0:1], s2, v19, 0
	v_mad_u64_u32 v[6:7], s[0:1], s2, v18, 0
	;; [unrolled: 1-line block ×3, first 2 shown]
	v_mov_b32_e32 v8, v17
	v_mad_u64_u32 v[17:18], s[0:1], s3, v18, v[7:8]
	v_mad_u64_u32 v[18:19], s[0:1], s3, v19, v[8:9]
	v_lshlrev_b64 v[8:9], 2, v[9:10]
	v_mov_b32_e32 v7, v17
	v_lshlrev_b64 v[6:7], 2, v[6:7]
	v_add_co_u32_e32 v8, vcc, v4, v8
	v_mov_b32_e32 v17, v18
	v_addc_co_u32_e32 v9, vcc, v5, v9, vcc
	v_lshlrev_b64 v[10:11], 2, v[16:17]
	v_add_co_u32_e32 v6, vcc, v4, v6
	v_addc_co_u32_e32 v7, vcc, v5, v7, vcc
	v_add_co_u32_e32 v4, vcc, v4, v10
	v_addc_co_u32_e32 v5, vcc, v5, v11, vcc
	s_waitcnt vmcnt(0)
	v_mul_f16_sdwa v10, v15, v0 dst_sel:DWORD dst_unused:UNUSED_PAD src0_sel:DWORD src1_sel:WORD_1
	v_mul_f16_sdwa v11, v14, v0 dst_sel:DWORD dst_unused:UNUSED_PAD src0_sel:DWORD src1_sel:WORD_1
	;; [unrolled: 1-line block ×4, first 2 shown]
	v_fma_f16 v10, v14, v0, -v10
	v_fma_f16 v0, v15, v0, v11
	v_fma_f16 v11, v12, v1, -v16
	v_fma_f16 v1, v13, v1, v17
	v_add_f16_e32 v12, v2, v10
	v_add_f16_e32 v13, v10, v11
	v_sub_f16_e32 v14, v0, v1
	v_add_f16_e32 v15, v3, v0
	v_add_f16_e32 v0, v0, v1
	v_sub_f16_e32 v10, v10, v11
	v_add_f16_e32 v11, v12, v11
	v_fma_f16 v2, v13, -0.5, v2
	v_add_f16_e32 v1, v15, v1
	v_fma_f16 v0, v0, -0.5, v3
	v_fma_f16 v3, v14, s4, v2
	v_fma_f16 v12, v10, s5, v0
	v_pack_b32_f16 v1, v11, v1
	v_fma_f16 v2, v14, s5, v2
	v_fma_f16 v0, v10, s4, v0
	global_store_dword v[8:9], v1, off
	v_pack_b32_f16 v1, v3, v12
	v_pack_b32_f16 v0, v2, v0
	global_store_dword v[6:7], v1, off
	global_store_dword v[4:5], v0, off
.LBB0_50:
	s_endpgm
	.section	.rodata,"a",@progbits
	.p2align	6, 0x0
	.amdhsa_kernel fft_rtc_fwd_len1944_factors_3_3_3_3_8_3_wgs_243_tpt_243_halfLds_half_ip_CI_sbrr_dirReg
		.amdhsa_group_segment_fixed_size 0
		.amdhsa_private_segment_fixed_size 0
		.amdhsa_kernarg_size 88
		.amdhsa_user_sgpr_count 6
		.amdhsa_user_sgpr_private_segment_buffer 1
		.amdhsa_user_sgpr_dispatch_ptr 0
		.amdhsa_user_sgpr_queue_ptr 0
		.amdhsa_user_sgpr_kernarg_segment_ptr 1
		.amdhsa_user_sgpr_dispatch_id 0
		.amdhsa_user_sgpr_flat_scratch_init 0
		.amdhsa_user_sgpr_private_segment_size 0
		.amdhsa_uses_dynamic_stack 0
		.amdhsa_system_sgpr_private_segment_wavefront_offset 0
		.amdhsa_system_sgpr_workgroup_id_x 1
		.amdhsa_system_sgpr_workgroup_id_y 0
		.amdhsa_system_sgpr_workgroup_id_z 0
		.amdhsa_system_sgpr_workgroup_info 0
		.amdhsa_system_vgpr_workitem_id 0
		.amdhsa_next_free_vgpr 49
		.amdhsa_next_free_sgpr 24
		.amdhsa_reserve_vcc 1
		.amdhsa_reserve_flat_scratch 0
		.amdhsa_float_round_mode_32 0
		.amdhsa_float_round_mode_16_64 0
		.amdhsa_float_denorm_mode_32 3
		.amdhsa_float_denorm_mode_16_64 3
		.amdhsa_dx10_clamp 1
		.amdhsa_ieee_mode 1
		.amdhsa_fp16_overflow 0
		.amdhsa_exception_fp_ieee_invalid_op 0
		.amdhsa_exception_fp_denorm_src 0
		.amdhsa_exception_fp_ieee_div_zero 0
		.amdhsa_exception_fp_ieee_overflow 0
		.amdhsa_exception_fp_ieee_underflow 0
		.amdhsa_exception_fp_ieee_inexact 0
		.amdhsa_exception_int_div_zero 0
	.end_amdhsa_kernel
	.text
.Lfunc_end0:
	.size	fft_rtc_fwd_len1944_factors_3_3_3_3_8_3_wgs_243_tpt_243_halfLds_half_ip_CI_sbrr_dirReg, .Lfunc_end0-fft_rtc_fwd_len1944_factors_3_3_3_3_8_3_wgs_243_tpt_243_halfLds_half_ip_CI_sbrr_dirReg
                                        ; -- End function
	.section	.AMDGPU.csdata,"",@progbits
; Kernel info:
; codeLenInByte = 7728
; NumSgprs: 28
; NumVgprs: 49
; ScratchSize: 0
; MemoryBound: 0
; FloatMode: 240
; IeeeMode: 1
; LDSByteSize: 0 bytes/workgroup (compile time only)
; SGPRBlocks: 3
; VGPRBlocks: 12
; NumSGPRsForWavesPerEU: 28
; NumVGPRsForWavesPerEU: 49
; Occupancy: 4
; WaveLimiterHint : 1
; COMPUTE_PGM_RSRC2:SCRATCH_EN: 0
; COMPUTE_PGM_RSRC2:USER_SGPR: 6
; COMPUTE_PGM_RSRC2:TRAP_HANDLER: 0
; COMPUTE_PGM_RSRC2:TGID_X_EN: 1
; COMPUTE_PGM_RSRC2:TGID_Y_EN: 0
; COMPUTE_PGM_RSRC2:TGID_Z_EN: 0
; COMPUTE_PGM_RSRC2:TIDIG_COMP_CNT: 0
	.type	__hip_cuid_a72a9f990eb9d930,@object ; @__hip_cuid_a72a9f990eb9d930
	.section	.bss,"aw",@nobits
	.globl	__hip_cuid_a72a9f990eb9d930
__hip_cuid_a72a9f990eb9d930:
	.byte	0                               ; 0x0
	.size	__hip_cuid_a72a9f990eb9d930, 1

	.ident	"AMD clang version 19.0.0git (https://github.com/RadeonOpenCompute/llvm-project roc-6.4.0 25133 c7fe45cf4b819c5991fe208aaa96edf142730f1d)"
	.section	".note.GNU-stack","",@progbits
	.addrsig
	.addrsig_sym __hip_cuid_a72a9f990eb9d930
	.amdgpu_metadata
---
amdhsa.kernels:
  - .args:
      - .actual_access:  read_only
        .address_space:  global
        .offset:         0
        .size:           8
        .value_kind:     global_buffer
      - .offset:         8
        .size:           8
        .value_kind:     by_value
      - .actual_access:  read_only
        .address_space:  global
        .offset:         16
        .size:           8
        .value_kind:     global_buffer
      - .actual_access:  read_only
        .address_space:  global
        .offset:         24
        .size:           8
        .value_kind:     global_buffer
      - .offset:         32
        .size:           8
        .value_kind:     by_value
      - .actual_access:  read_only
        .address_space:  global
        .offset:         40
        .size:           8
        .value_kind:     global_buffer
      - .actual_access:  read_only
        .address_space:  global
        .offset:         48
        .size:           8
        .value_kind:     global_buffer
      - .offset:         56
        .size:           4
        .value_kind:     by_value
      - .actual_access:  read_only
        .address_space:  global
        .offset:         64
        .size:           8
        .value_kind:     global_buffer
      - .actual_access:  read_only
        .address_space:  global
        .offset:         72
        .size:           8
        .value_kind:     global_buffer
      - .address_space:  global
        .offset:         80
        .size:           8
        .value_kind:     global_buffer
    .group_segment_fixed_size: 0
    .kernarg_segment_align: 8
    .kernarg_segment_size: 88
    .language:       OpenCL C
    .language_version:
      - 2
      - 0
    .max_flat_workgroup_size: 243
    .name:           fft_rtc_fwd_len1944_factors_3_3_3_3_8_3_wgs_243_tpt_243_halfLds_half_ip_CI_sbrr_dirReg
    .private_segment_fixed_size: 0
    .sgpr_count:     28
    .sgpr_spill_count: 0
    .symbol:         fft_rtc_fwd_len1944_factors_3_3_3_3_8_3_wgs_243_tpt_243_halfLds_half_ip_CI_sbrr_dirReg.kd
    .uniform_work_group_size: 1
    .uses_dynamic_stack: false
    .vgpr_count:     49
    .vgpr_spill_count: 0
    .wavefront_size: 64
amdhsa.target:   amdgcn-amd-amdhsa--gfx906
amdhsa.version:
  - 1
  - 2
...

	.end_amdgpu_metadata
